;; amdgpu-corpus repo=ROCm/rocFFT kind=compiled arch=gfx950 opt=O3
	.text
	.amdgcn_target "amdgcn-amd-amdhsa--gfx950"
	.amdhsa_code_object_version 6
	.protected	fft_rtc_fwd_len686_factors_7_7_7_2_wgs_49_tpt_49_dp_ip_CI_sbrr_dirReg ; -- Begin function fft_rtc_fwd_len686_factors_7_7_7_2_wgs_49_tpt_49_dp_ip_CI_sbrr_dirReg
	.globl	fft_rtc_fwd_len686_factors_7_7_7_2_wgs_49_tpt_49_dp_ip_CI_sbrr_dirReg
	.p2align	8
	.type	fft_rtc_fwd_len686_factors_7_7_7_2_wgs_49_tpt_49_dp_ip_CI_sbrr_dirReg,@function
fft_rtc_fwd_len686_factors_7_7_7_2_wgs_49_tpt_49_dp_ip_CI_sbrr_dirReg: ; @fft_rtc_fwd_len686_factors_7_7_7_2_wgs_49_tpt_49_dp_ip_CI_sbrr_dirReg
; %bb.0:
	s_load_dwordx2 s[12:13], s[0:1], 0x18
	s_load_dwordx4 s[4:7], s[0:1], 0x0
	s_load_dwordx2 s[10:11], s[0:1], 0x50
	v_mul_u32_u24_e32 v1, 0x53a, v0
	v_add_u32_sdwa v6, s2, v1 dst_sel:DWORD dst_unused:UNUSED_PAD src0_sel:DWORD src1_sel:WORD_1
	s_waitcnt lgkmcnt(0)
	s_load_dwordx2 s[8:9], s[12:13], 0x0
	v_mov_b32_e32 v4, 0
	v_cmp_lt_u64_e64 s[2:3], s[6:7], 2
	v_mov_b32_e32 v7, v4
	s_and_b64 vcc, exec, s[2:3]
	v_mov_b64_e32 v[2:3], 0
	s_cbranch_vccnz .LBB0_8
; %bb.1:
	s_load_dwordx2 s[2:3], s[0:1], 0x10
	s_add_u32 s14, s12, 8
	s_addc_u32 s15, s13, 0
	s_mov_b64 s[16:17], 1
	v_mov_b64_e32 v[2:3], 0
	s_waitcnt lgkmcnt(0)
	s_add_u32 s18, s2, 8
	s_addc_u32 s19, s3, 0
.LBB0_2:                                ; =>This Inner Loop Header: Depth=1
	s_load_dwordx2 s[20:21], s[18:19], 0x0
                                        ; implicit-def: $vgpr8_vgpr9
	s_waitcnt lgkmcnt(0)
	v_or_b32_e32 v5, s21, v7
	v_cmp_ne_u64_e32 vcc, 0, v[4:5]
	s_and_saveexec_b64 s[2:3], vcc
	s_xor_b64 s[22:23], exec, s[2:3]
	s_cbranch_execz .LBB0_4
; %bb.3:                                ;   in Loop: Header=BB0_2 Depth=1
	v_cvt_f32_u32_e32 v1, s20
	v_cvt_f32_u32_e32 v5, s21
	s_sub_u32 s2, 0, s20
	s_subb_u32 s3, 0, s21
	v_fmac_f32_e32 v1, 0x4f800000, v5
	v_rcp_f32_e32 v1, v1
	s_nop 0
	v_mul_f32_e32 v1, 0x5f7ffffc, v1
	v_mul_f32_e32 v5, 0x2f800000, v1
	v_trunc_f32_e32 v5, v5
	v_fmac_f32_e32 v1, 0xcf800000, v5
	v_cvt_u32_f32_e32 v5, v5
	v_cvt_u32_f32_e32 v1, v1
	v_mul_lo_u32 v8, s2, v5
	v_mul_hi_u32 v10, s2, v1
	v_mul_lo_u32 v9, s3, v1
	v_add_u32_e32 v10, v10, v8
	v_mul_lo_u32 v12, s2, v1
	v_add_u32_e32 v13, v10, v9
	v_mul_hi_u32 v8, v1, v12
	v_mul_hi_u32 v11, v1, v13
	v_mul_lo_u32 v10, v1, v13
	v_mov_b32_e32 v9, v4
	v_lshl_add_u64 v[8:9], v[8:9], 0, v[10:11]
	v_mul_hi_u32 v11, v5, v12
	v_mul_lo_u32 v12, v5, v12
	v_add_co_u32_e32 v8, vcc, v8, v12
	v_mul_hi_u32 v10, v5, v13
	s_nop 0
	v_addc_co_u32_e32 v8, vcc, v9, v11, vcc
	v_mov_b32_e32 v9, v4
	s_nop 0
	v_addc_co_u32_e32 v11, vcc, 0, v10, vcc
	v_mul_lo_u32 v10, v5, v13
	v_lshl_add_u64 v[8:9], v[8:9], 0, v[10:11]
	v_add_co_u32_e32 v1, vcc, v1, v8
	v_mul_lo_u32 v10, s2, v1
	s_nop 0
	v_addc_co_u32_e32 v5, vcc, v5, v9, vcc
	v_mul_lo_u32 v8, s2, v5
	v_mul_hi_u32 v9, s2, v1
	v_add_u32_e32 v8, v9, v8
	v_mul_lo_u32 v9, s3, v1
	v_add_u32_e32 v12, v8, v9
	v_mul_hi_u32 v14, v5, v10
	v_mul_lo_u32 v15, v5, v10
	v_mul_hi_u32 v9, v1, v12
	v_mul_lo_u32 v8, v1, v12
	v_mul_hi_u32 v10, v1, v10
	v_mov_b32_e32 v11, v4
	v_lshl_add_u64 v[8:9], v[10:11], 0, v[8:9]
	v_add_co_u32_e32 v8, vcc, v8, v15
	v_mul_hi_u32 v13, v5, v12
	s_nop 0
	v_addc_co_u32_e32 v8, vcc, v9, v14, vcc
	v_mul_lo_u32 v10, v5, v12
	s_nop 0
	v_addc_co_u32_e32 v11, vcc, 0, v13, vcc
	v_mov_b32_e32 v9, v4
	v_lshl_add_u64 v[8:9], v[8:9], 0, v[10:11]
	v_add_co_u32_e32 v1, vcc, v1, v8
	v_mul_hi_u32 v10, v6, v1
	s_nop 0
	v_addc_co_u32_e32 v5, vcc, v5, v9, vcc
	v_mad_u64_u32 v[8:9], s[2:3], v6, v5, 0
	v_mov_b32_e32 v11, v4
	v_lshl_add_u64 v[8:9], v[10:11], 0, v[8:9]
	v_mad_u64_u32 v[12:13], s[2:3], v7, v1, 0
	v_add_co_u32_e32 v1, vcc, v8, v12
	v_mad_u64_u32 v[10:11], s[2:3], v7, v5, 0
	s_nop 0
	v_addc_co_u32_e32 v8, vcc, v9, v13, vcc
	v_mov_b32_e32 v9, v4
	s_nop 0
	v_addc_co_u32_e32 v11, vcc, 0, v11, vcc
	v_lshl_add_u64 v[8:9], v[8:9], 0, v[10:11]
	v_mul_lo_u32 v1, s21, v8
	v_mul_lo_u32 v5, s20, v9
	v_mad_u64_u32 v[10:11], s[2:3], s20, v8, 0
	v_add3_u32 v1, v11, v5, v1
	v_sub_u32_e32 v5, v7, v1
	v_mov_b32_e32 v11, s21
	v_sub_co_u32_e32 v14, vcc, v6, v10
	v_lshl_add_u64 v[12:13], v[8:9], 0, 1
	s_nop 0
	v_subb_co_u32_e64 v5, s[2:3], v5, v11, vcc
	v_subrev_co_u32_e64 v10, s[2:3], s20, v14
	v_subb_co_u32_e32 v1, vcc, v7, v1, vcc
	s_nop 0
	v_subbrev_co_u32_e64 v5, s[2:3], 0, v5, s[2:3]
	v_cmp_le_u32_e64 s[2:3], s21, v5
	v_cmp_le_u32_e32 vcc, s21, v1
	s_nop 0
	v_cndmask_b32_e64 v11, 0, -1, s[2:3]
	v_cmp_le_u32_e64 s[2:3], s20, v10
	s_nop 1
	v_cndmask_b32_e64 v10, 0, -1, s[2:3]
	v_cmp_eq_u32_e64 s[2:3], s21, v5
	s_nop 1
	v_cndmask_b32_e64 v5, v11, v10, s[2:3]
	v_lshl_add_u64 v[10:11], v[8:9], 0, 2
	v_cmp_ne_u32_e64 s[2:3], 0, v5
	s_nop 1
	v_cndmask_b32_e64 v5, v13, v11, s[2:3]
	v_cndmask_b32_e64 v11, 0, -1, vcc
	v_cmp_le_u32_e32 vcc, s20, v14
	s_nop 1
	v_cndmask_b32_e64 v13, 0, -1, vcc
	v_cmp_eq_u32_e32 vcc, s21, v1
	s_nop 1
	v_cndmask_b32_e32 v1, v11, v13, vcc
	v_cmp_ne_u32_e32 vcc, 0, v1
	v_cndmask_b32_e64 v1, v12, v10, s[2:3]
	s_nop 0
	v_cndmask_b32_e32 v9, v9, v5, vcc
	v_cndmask_b32_e32 v8, v8, v1, vcc
.LBB0_4:                                ;   in Loop: Header=BB0_2 Depth=1
	s_andn2_saveexec_b64 s[2:3], s[22:23]
	s_cbranch_execz .LBB0_6
; %bb.5:                                ;   in Loop: Header=BB0_2 Depth=1
	v_cvt_f32_u32_e32 v1, s20
	s_sub_i32 s22, 0, s20
	v_rcp_iflag_f32_e32 v1, v1
	s_nop 0
	v_mul_f32_e32 v1, 0x4f7ffffe, v1
	v_cvt_u32_f32_e32 v1, v1
	v_mul_lo_u32 v5, s22, v1
	v_mul_hi_u32 v5, v1, v5
	v_add_u32_e32 v1, v1, v5
	v_mul_hi_u32 v1, v6, v1
	v_mul_lo_u32 v5, v1, s20
	v_sub_u32_e32 v5, v6, v5
	v_add_u32_e32 v8, 1, v1
	v_subrev_u32_e32 v9, s20, v5
	v_cmp_le_u32_e32 vcc, s20, v5
	s_nop 1
	v_cndmask_b32_e32 v5, v5, v9, vcc
	v_cndmask_b32_e32 v1, v1, v8, vcc
	v_add_u32_e32 v8, 1, v1
	v_cmp_le_u32_e32 vcc, s20, v5
	v_mov_b32_e32 v9, v4
	s_nop 0
	v_cndmask_b32_e32 v8, v1, v8, vcc
.LBB0_6:                                ;   in Loop: Header=BB0_2 Depth=1
	s_or_b64 exec, exec, s[2:3]
	v_mad_u64_u32 v[10:11], s[2:3], v8, s20, 0
	s_load_dwordx2 s[2:3], s[14:15], 0x0
	v_mul_lo_u32 v1, v9, s20
	v_mul_lo_u32 v5, v8, s21
	v_add3_u32 v1, v11, v5, v1
	v_sub_co_u32_e32 v5, vcc, v6, v10
	s_add_u32 s16, s16, 1
	s_nop 0
	v_subb_co_u32_e32 v1, vcc, v7, v1, vcc
	s_addc_u32 s17, s17, 0
	s_waitcnt lgkmcnt(0)
	v_mul_lo_u32 v1, s2, v1
	v_mul_lo_u32 v6, s3, v5
	v_mad_u64_u32 v[2:3], s[2:3], s2, v5, v[2:3]
	s_add_u32 s14, s14, 8
	v_add3_u32 v3, v6, v3, v1
	s_addc_u32 s15, s15, 0
	v_mov_b64_e32 v[6:7], s[6:7]
	s_add_u32 s18, s18, 8
	v_cmp_ge_u64_e32 vcc, s[16:17], v[6:7]
	s_addc_u32 s19, s19, 0
	s_cbranch_vccnz .LBB0_9
; %bb.7:                                ;   in Loop: Header=BB0_2 Depth=1
	v_mov_b64_e32 v[6:7], v[8:9]
	s_branch .LBB0_2
.LBB0_8:
	v_mov_b64_e32 v[8:9], v[6:7]
.LBB0_9:
	s_lshl_b64 s[2:3], s[6:7], 3
	s_add_u32 s2, s12, s2
	s_addc_u32 s3, s13, s3
	s_load_dwordx2 s[6:7], s[2:3], 0x0
	s_load_dwordx2 s[12:13], s[0:1], 0x20
	s_mov_b32 s2, 0x539782a
                                        ; implicit-def: $vgpr62
                                        ; implicit-def: $vgpr58
                                        ; implicit-def: $vgpr56
                                        ; implicit-def: $vgpr54
                                        ; implicit-def: $vgpr50
                                        ; implicit-def: $vgpr52
                                        ; implicit-def: $vgpr60_vgpr61
	s_waitcnt lgkmcnt(0)
	v_mul_lo_u32 v1, s6, v9
	v_mul_lo_u32 v4, s7, v8
	v_mad_u64_u32 v[2:3], s[0:1], s6, v8, v[2:3]
	v_add3_u32 v3, v4, v3, v1
	v_mul_hi_u32 v1, v0, s2
	v_mul_u32_u24_e32 v1, 49, v1
	v_sub_u32_e32 v44, v0, v1
	v_cmp_gt_u64_e32 vcc, s[12:13], v[8:9]
	v_cmp_le_u64_e64 s[0:1], s[12:13], v[8:9]
	v_add_u32_e32 v48, 49, v44
	s_and_saveexec_b64 s[2:3], s[0:1]
	s_xor_b64 s[0:1], exec, s[2:3]
	s_cbranch_execz .LBB0_11
; %bb.10:
	v_mov_b32_e32 v45, 0
	v_add_u32_e32 v62, 49, v44
	v_mov_b32_e32 v63, v45
	v_add_u32_e32 v58, 0x62, v44
	v_add_u32_e32 v56, 0xc4, v44
	v_add_u32_e32 v54, 0x126, v44
	v_add_u32_e32 v50, 0x93, v44
	v_add_u32_e32 v52, 0xf5, v44
	v_mov_b32_e32 v59, v45
	v_mov_b32_e32 v51, v45
	;; [unrolled: 1-line block ×5, first 2 shown]
	v_mov_b64_e32 v[60:61], v[62:63]
.LBB0_11:
	s_or_saveexec_b64 s[0:1], s[0:1]
	v_lshl_add_u64 v[46:47], v[2:3], 4, s[10:11]
	v_lshl_add_u32 v63, v44, 4, 0
	s_xor_b64 exec, exec, s[0:1]
	s_cbranch_execz .LBB0_13
; %bb.12:
	v_mad_u64_u32 v[0:1], s[2:3], s8, v44, 0
	v_mov_b32_e32 v2, v1
	v_mad_u64_u32 v[2:3], s[2:3], s9, v44, v[2:3]
	v_mov_b32_e32 v1, v2
	v_lshl_add_u64 v[8:9], v[0:1], 4, v[46:47]
	v_mad_u64_u32 v[0:1], s[2:3], s8, v48, 0
	v_mov_b32_e32 v2, v1
	v_mad_u64_u32 v[2:3], s[2:3], s9, v48, v[2:3]
	v_mov_b32_e32 v1, v2
	v_add_u32_e32 v58, 0x62, v44
	v_lshl_add_u64 v[10:11], v[0:1], 4, v[46:47]
	global_load_dwordx4 v[0:3], v[8:9], off
	global_load_dwordx4 v[4:7], v[10:11], off
	v_mad_u64_u32 v[8:9], s[2:3], s8, v58, 0
	v_mov_b32_e32 v10, v9
	v_mad_u64_u32 v[10:11], s[2:3], s9, v58, v[10:11]
	v_mov_b32_e32 v9, v10
	v_add_u32_e32 v50, 0x93, v44
	v_lshl_add_u64 v[16:17], v[8:9], 4, v[46:47]
	v_mad_u64_u32 v[8:9], s[2:3], s8, v50, 0
	v_mov_b32_e32 v10, v9
	v_mad_u64_u32 v[10:11], s[2:3], s9, v50, v[10:11]
	v_mov_b32_e32 v9, v10
	v_add_u32_e32 v56, 0xc4, v44
	v_lshl_add_u64 v[18:19], v[8:9], 4, v[46:47]
	global_load_dwordx4 v[8:11], v[16:17], off
	global_load_dwordx4 v[12:15], v[18:19], off
	v_add_u32_e32 v52, 0xf5, v44
	v_add_u32_e32 v54, 0x126, v44
	;; [unrolled: 1-line block ×4, first 2 shown]
	v_mad_u64_u32 v[16:17], s[2:3], s8, v56, 0
	v_mad_u64_u32 v[18:19], s[2:3], s8, v52, 0
	;; [unrolled: 1-line block ×5, first 2 shown]
	v_mov_b32_e32 v26, v17
	v_add_u32_e32 v39, 0x1b9, v44
	v_mov_b32_e32 v28, v19
	v_mov_b32_e32 v30, v21
	;; [unrolled: 1-line block ×4, first 2 shown]
	v_mad_u64_u32 v[26:27], s[2:3], s9, v56, v[26:27]
	v_mad_u64_u32 v[32:33], s[2:3], s8, v39, 0
	;; [unrolled: 1-line block ×6, first 2 shown]
	v_mov_b32_e32 v17, v26
	v_mov_b32_e32 v38, v33
	v_mov_b32_e32 v19, v28
	v_mov_b32_e32 v21, v30
	v_mov_b32_e32 v23, v34
	v_mov_b32_e32 v25, v36
	v_lshl_add_u64 v[34:35], v[16:17], 4, v[46:47]
	v_lshl_add_u64 v[36:37], v[18:19], 4, v[46:47]
	;; [unrolled: 1-line block ×5, first 2 shown]
	global_load_dwordx4 v[16:19], v[34:35], off
	global_load_dwordx4 v[20:23], v[36:37], off
	;; [unrolled: 1-line block ×4, first 2 shown]
	v_mad_u64_u32 v[34:35], s[2:3], s9, v39, v[38:39]
	v_mov_b32_e32 v33, v34
	v_lshl_add_u64 v[40:41], v[32:33], 4, v[46:47]
	v_add_u32_e32 v43, 0x1ea, v44
	global_load_dwordx4 v[32:35], v[60:61], off
	global_load_dwordx4 v[36:39], v[40:41], off
	v_mad_u64_u32 v[40:41], s[2:3], s8, v43, 0
	v_mov_b32_e32 v42, v41
	v_mad_u64_u32 v[42:43], s[2:3], s9, v43, v[42:43]
	v_mov_b32_e32 v41, v42
	v_add_u32_e32 v43, 0x21b, v44
	v_lshl_add_u64 v[60:61], v[40:41], 4, v[46:47]
	v_mad_u64_u32 v[40:41], s[2:3], s8, v43, 0
	v_mov_b32_e32 v42, v41
	v_mad_u64_u32 v[42:43], s[2:3], s9, v43, v[42:43]
	v_mov_b32_e32 v41, v42
	v_add_u32_e32 v45, 0x24c, v44
	v_lshl_add_u64 v[68:69], v[40:41], 4, v[46:47]
	global_load_dwordx4 v[40:43], v[60:61], off
	global_load_dwordx4 v[64:67], v[68:69], off
	v_mad_u64_u32 v[60:61], s[2:3], s8, v45, 0
	v_mov_b32_e32 v62, v61
	v_mad_u64_u32 v[68:69], s[2:3], s9, v45, v[62:63]
	v_add_u32_e32 v45, 0x27d, v44
	v_mov_b32_e32 v61, v68
	v_mad_u64_u32 v[68:69], s[2:3], s8, v45, 0
	v_mov_b32_e32 v62, v69
	v_mad_u64_u32 v[70:71], s[2:3], s9, v45, v[62:63]
	v_lshl_add_u64 v[60:61], v[60:61], 4, v[46:47]
	v_mov_b32_e32 v69, v70
	v_lshl_add_u64 v[76:77], v[68:69], 4, v[46:47]
	global_load_dwordx4 v[68:71], v[60:61], off
	global_load_dwordx4 v[72:75], v[76:77], off
	v_mov_b32_e32 v45, 0
	v_mov_b32_e32 v49, v45
	;; [unrolled: 1-line block ×7, first 2 shown]
	v_mov_b64_e32 v[60:61], v[48:49]
	v_mov_b32_e32 v62, v48
	s_waitcnt vmcnt(13)
	ds_write_b128 v63, v[0:3]
	s_waitcnt vmcnt(12)
	ds_write_b128 v63, v[4:7] offset:784
	s_waitcnt vmcnt(11)
	ds_write_b128 v63, v[8:11] offset:1568
	;; [unrolled: 2-line block ×13, first 2 shown]
.LBB0_13:
	s_or_b64 exec, exec, s[0:1]
	s_waitcnt lgkmcnt(0)
	; wave barrier
	s_waitcnt lgkmcnt(0)
	ds_read_b128 v[12:15], v63 offset:6272
	ds_read_b128 v[4:7], v63 offset:9408
	;; [unrolled: 1-line block ×10, first 2 shown]
	s_waitcnt lgkmcnt(7)
	v_add_f64 v[0:1], v[8:9], v[4:5]
	s_waitcnt lgkmcnt(3)
	v_add_f64 v[36:37], v[16:17], v[28:29]
	v_add_f64 v[34:35], v[18:19], v[30:31]
	v_add_f64 v[38:39], v[16:17], -v[28:29]
	v_add_f64 v[32:33], v[18:19], -v[30:31]
	ds_read_b128 v[28:31], v63 offset:5488
	ds_read_b128 v[72:75], v63 offset:7056
	v_add_f64 v[2:3], v[10:11], v[6:7]
	v_add_f64 v[4:5], v[8:9], -v[4:5]
	v_add_f64 v[6:7], v[10:11], -v[6:7]
	s_waitcnt lgkmcnt(2)
	v_add_f64 v[8:9], v[68:69], v[12:13]
	v_add_f64 v[10:11], v[70:71], v[14:15]
	v_add_f64 v[12:13], v[12:13], -v[68:69]
	v_add_f64 v[14:15], v[14:15], -v[70:71]
	v_add_f64 v[68:69], v[24:25], v[40:41]
	v_add_f64 v[70:71], v[26:27], v[42:43]
	v_add_f64 v[76:77], v[24:25], -v[40:41]
	v_add_f64 v[78:79], v[26:27], -v[42:43]
	ds_read_b128 v[40:43], v63
	v_add_f64 v[16:17], v[20:21], v[64:65]
	v_add_f64 v[20:21], v[20:21], -v[64:65]
	v_add_f64 v[64:65], v[36:37], v[0:1]
	s_waitcnt lgkmcnt(1)
	v_add_f64 v[24:25], v[28:29], v[72:73]
	v_add_f64 v[28:29], v[72:73], -v[28:29]
	v_add_f64 v[72:73], v[8:9], v[64:65]
	v_add_f64 v[64:65], v[34:35], v[2:3]
	;; [unrolled: 1-line block ×3, first 2 shown]
	v_add_f64 v[22:23], v[22:23], -v[66:67]
	v_add_f64 v[26:27], v[30:31], v[74:75]
	v_add_f64 v[30:31], v[74:75], -v[30:31]
	v_add_f64 v[74:75], v[10:11], v[64:65]
	ds_read_b128 v[64:67], v63 offset:784
	s_waitcnt lgkmcnt(1)
	v_add_f64 v[40:41], v[40:41], v[72:73]
	s_mov_b32 s18, 0xaaaaaaaa
	v_add_f64 v[42:43], v[42:43], v[74:75]
	s_mov_b32 s19, 0xbff2aaaa
	v_mov_b64_e32 v[80:81], v[40:41]
	v_fmac_f64_e32 v[80:81], s[18:19], v[72:73]
	v_mov_b64_e32 v[72:73], v[42:43]
	s_mov_b32 s0, 0x36b3c0b5
	s_mov_b32 s6, 0x429ad128
	;; [unrolled: 1-line block ×3, first 2 shown]
	v_fmac_f64_e32 v[72:73], s[18:19], v[74:75]
	v_add_f64 v[74:75], v[36:37], -v[0:1]
	v_add_f64 v[82:83], v[8:9], -v[36:37]
	;; [unrolled: 1-line block ×4, first 2 shown]
	s_mov_b32 s1, 0x3fac98ee
	s_mov_b32 s7, 0x3febfeb5
	;; [unrolled: 1-line block ×3, first 2 shown]
	v_add_f64 v[0:1], v[0:1], -v[8:9]
	v_add_f64 v[2:3], v[2:3], -v[10:11]
	s_mov_b32 s13, 0x3fe948f6
	s_mov_b32 s10, 0xb247c609
	v_add_f64 v[86:87], v[10:11], -v[34:35]
	v_add_f64 v[34:35], v[12:13], v[38:39]
	v_add_f64 v[36:37], v[12:13], -v[38:39]
	v_add_f64 v[38:39], v[14:15], v[32:33]
	v_add_f64 v[90:91], v[14:15], -v[32:33]
	v_add_f64 v[92:93], v[32:33], -v[6:7]
	s_mov_b32 s21, 0x3fe77f67
	v_mul_f64 v[32:33], v[82:83], s[0:1]
	s_mov_b32 s2, 0x37c3f68c
	v_add_f64 v[8:9], v[4:5], -v[12:13]
	v_add_f64 v[10:11], v[6:7], -v[14:15]
	v_mul_f64 v[12:13], v[0:1], s[12:13]
	v_mul_f64 v[14:15], v[2:3], s[12:13]
	;; [unrolled: 1-line block ×3, first 2 shown]
	s_mov_b32 s15, 0xbfe77f67
	s_mov_b32 s14, s20
	;; [unrolled: 1-line block ×5, first 2 shown]
	v_add_f64 v[94:95], v[34:35], v[4:5]
	v_add_f64 v[96:97], v[38:39], v[6:7]
	v_fma_f64 v[32:33], v[74:75], s[20:21], -v[32:33]
	v_mul_f64 v[34:35], v[86:87], s[0:1]
	s_mov_b32 s3, 0x3fdc38aa
	v_fma_f64 v[4:5], v[74:75], s[14:15], -v[12:13]
	v_fma_f64 v[6:7], v[84:85], s[14:15], -v[14:15]
	;; [unrolled: 1-line block ×4, first 2 shown]
	v_mul_f64 v[2:3], v[92:93], s[6:7]
	v_add_f64 v[6:7], v[6:7], v[72:73]
	v_fmac_f64_e32 v[74:75], s[2:3], v[94:95]
	v_fmac_f64_e32 v[14:15], s[0:1], v[86:87]
	s_mov_b32 s22, 0xe976ee23
	v_add_f64 v[38:39], v[34:35], v[72:73]
	v_fma_f64 v[84:85], v[10:11], s[16:17], -v[2:3]
	v_add_f64 v[2:3], v[6:7], -v[74:75]
	v_add_f64 v[6:7], v[74:75], v[6:7]
	v_add_f64 v[14:15], v[14:15], v[72:73]
	;; [unrolled: 1-line block ×4, first 2 shown]
	s_mov_b32 s23, 0xbfe11646
	v_add_f64 v[72:73], v[24:25], v[72:73]
	v_add_f64 v[74:75], v[26:27], v[74:75]
	v_mul_f64 v[98:99], v[36:37], s[22:23]
	v_mul_f64 v[90:91], v[90:91], s[22:23]
	v_fmac_f64_e32 v[12:13], s[0:1], v[82:83]
	s_waitcnt lgkmcnt(0)
	v_add_f64 v[64:65], v[64:65], v[72:73]
	v_add_f64 v[66:67], v[66:67], v[74:75]
	;; [unrolled: 1-line block ×3, first 2 shown]
	v_fma_f64 v[100:101], v[88:89], s[6:7], -v[98:99]
	v_fma_f64 v[102:103], v[92:93], s[6:7], -v[90:91]
	v_add_f64 v[4:5], v[4:5], v[80:81]
	v_fmac_f64_e32 v[84:85], s[2:3], v[96:97]
	v_fmac_f64_e32 v[98:99], s[10:11], v[8:9]
	;; [unrolled: 1-line block ×3, first 2 shown]
	v_add_f64 v[12:13], v[12:13], v[80:81]
	v_mov_b64_e32 v[80:81], v[64:65]
	v_mov_b64_e32 v[82:83], v[66:67]
	v_add_f64 v[0:1], v[4:5], v[84:85]
	v_add_f64 v[4:5], v[4:5], -v[84:85]
	v_fmac_f64_e32 v[98:99], s[2:3], v[94:95]
	v_fmac_f64_e32 v[90:91], s[2:3], v[96:97]
	;; [unrolled: 1-line block ×4, first 2 shown]
	v_add_f64 v[84:85], v[68:69], -v[16:17]
	v_add_f64 v[88:89], v[70:71], -v[18:19]
	v_add_f64 v[72:73], v[30:31], v[78:79]
	v_add_f64 v[74:75], v[30:31], -v[78:79]
	v_add_f64 v[78:79], v[78:79], -v[22:23]
	;; [unrolled: 1-line block ×4, first 2 shown]
	v_fmac_f64_e32 v[102:103], s[2:3], v[96:97]
	v_add_f64 v[8:9], v[12:13], v[90:91]
	v_add_f64 v[10:11], v[14:15], -v[98:99]
	v_add_f64 v[12:13], v[12:13], -v[90:91]
	v_add_f64 v[14:15], v[98:99], v[14:15]
	v_add_f64 v[86:87], v[24:25], -v[68:69]
	v_add_f64 v[90:91], v[26:27], -v[70:71]
	v_add_f64 v[68:69], v[28:29], v[76:77]
	v_add_f64 v[70:71], v[28:29], -v[76:77]
	v_add_f64 v[76:77], v[76:77], -v[20:21]
	v_mul_f64 v[98:99], v[74:75], s[22:23]
	v_add_f64 v[24:25], v[20:21], -v[28:29]
	v_add_f64 v[26:27], v[22:23], -v[30:31]
	v_mul_f64 v[28:29], v[16:17], s[12:13]
	v_mul_f64 v[30:31], v[18:19], s[12:13]
	;; [unrolled: 1-line block ×3, first 2 shown]
	v_fmac_f64_e32 v[100:101], s[2:3], v[94:95]
	v_add_f64 v[32:33], v[36:37], -v[102:103]
	v_add_f64 v[36:37], v[36:37], v[102:103]
	v_add_f64 v[92:93], v[68:69], v[20:21]
	;; [unrolled: 1-line block ×3, first 2 shown]
	v_mul_f64 v[96:97], v[70:71], s[22:23]
	v_mul_f64 v[68:69], v[86:87], s[0:1]
	;; [unrolled: 1-line block ×3, first 2 shown]
	v_fma_f64 v[102:103], v[78:79], s[6:7], -v[98:99]
	v_mul_f64 v[16:17], v[76:77], s[6:7]
	v_fma_f64 v[20:21], v[84:85], s[14:15], -v[28:29]
	v_fma_f64 v[78:79], v[26:27], s[16:17], -v[18:19]
	s_movk_i32 s24, 0x60
	v_add_f64 v[34:35], v[100:101], v[38:39]
	v_add_f64 v[38:39], v[38:39], -v[100:101]
	v_fma_f64 v[68:69], v[84:85], s[20:21], -v[68:69]
	v_fma_f64 v[70:71], v[88:89], s[20:21], -v[70:71]
	;; [unrolled: 1-line block ×5, first 2 shown]
	v_add_f64 v[20:21], v[20:21], v[80:81]
	v_fmac_f64_e32 v[78:79], s[2:3], v[94:95]
	v_fmac_f64_e32 v[28:29], s[0:1], v[86:87]
	;; [unrolled: 1-line block ×5, first 2 shown]
	v_mad_u32_u24 v49, v44, s24, v63
	s_movk_i32 s24, 0x70
	v_add_f64 v[72:73], v[68:69], v[80:81]
	v_add_f64 v[74:75], v[70:71], v[82:83]
	v_fmac_f64_e32 v[100:101], s[2:3], v[92:93]
	v_fmac_f64_e32 v[102:103], s[2:3], v[94:95]
	v_add_f64 v[22:23], v[22:23], v[82:83]
	v_fmac_f64_e32 v[76:77], s[2:3], v[92:93]
	v_add_f64 v[16:17], v[20:21], v[78:79]
	v_add_f64 v[20:21], v[20:21], -v[78:79]
	v_add_f64 v[28:29], v[28:29], v[80:81]
	v_add_f64 v[30:31], v[30:31], v[82:83]
	v_fmac_f64_e32 v[96:97], s[2:3], v[92:93]
	v_fmac_f64_e32 v[98:99], s[2:3], v[94:95]
	v_mad_i32_i24 v78, v62, s24, 0
	v_add_f64 v[68:69], v[72:73], -v[102:103]
	v_add_f64 v[70:71], v[100:101], v[74:75]
	v_add_f64 v[72:73], v[72:73], v[102:103]
	v_add_f64 v[74:75], v[74:75], -v[100:101]
	v_add_f64 v[18:19], v[22:23], -v[76:77]
	v_add_f64 v[22:23], v[76:77], v[22:23]
	v_add_f64 v[24:25], v[28:29], v[98:99]
	v_add_f64 v[26:27], v[30:31], -v[96:97]
	v_add_f64 v[28:29], v[28:29], -v[98:99]
	v_add_f64 v[30:31], v[96:97], v[30:31]
	s_waitcnt lgkmcnt(0)
	; wave barrier
	ds_write_b128 v49, v[40:43]
	ds_write_b128 v49, v[8:11] offset:16
	ds_write_b128 v49, v[0:3] offset:32
	;; [unrolled: 1-line block ×6, first 2 shown]
	ds_write_b128 v78, v[64:67]
	ds_write_b128 v78, v[24:27] offset:16
	ds_write_b128 v78, v[16:19] offset:32
	;; [unrolled: 1-line block ×6, first 2 shown]
	v_mov_b32_e32 v16, 37
	v_mul_lo_u16_sdwa v0, v44, v16 dst_sel:DWORD dst_unused:UNUSED_PAD src0_sel:BYTE_0 src1_sel:DWORD
	v_sub_u16_sdwa v1, v44, v0 dst_sel:DWORD dst_unused:UNUSED_PAD src0_sel:DWORD src1_sel:BYTE_1
	v_lshrrev_b16_e32 v1, 1, v1
	v_and_b32_e32 v1, 0x7f, v1
	v_add_u16_sdwa v0, v1, v0 dst_sel:DWORD dst_unused:UNUSED_PAD src0_sel:DWORD src1_sel:BYTE_1
	v_lshrrev_b16_e32 v74, 2, v0
	v_mul_lo_u16_e32 v0, 7, v74
	v_sub_u16_e32 v75, v44, v0
	v_mov_b32_e32 v17, 6
	v_mul_u32_u24_sdwa v0, v75, v17 dst_sel:DWORD dst_unused:UNUSED_PAD src0_sel:BYTE_0 src1_sel:DWORD
	v_lshlrev_b32_e32 v18, 4, v0
	s_waitcnt lgkmcnt(0)
	; wave barrier
	s_waitcnt lgkmcnt(0)
	global_load_dwordx4 v[40:43], v18, s[4:5]
	global_load_dwordx4 v[80:83], v18, s[4:5] offset:16
	global_load_dwordx4 v[4:7], v18, s[4:5] offset:32
	;; [unrolled: 1-line block ×5, first 2 shown]
	v_mul_lo_u16_sdwa v16, v62, v16 dst_sel:DWORD dst_unused:UNUSED_PAD src0_sel:BYTE_0 src1_sel:DWORD
	v_sub_u16_sdwa v18, v62, v16 dst_sel:DWORD dst_unused:UNUSED_PAD src0_sel:DWORD src1_sel:BYTE_1
	v_lshrrev_b16_e32 v18, 1, v18
	v_and_b32_e32 v18, 0x7f, v18
	v_add_u16_sdwa v16, v18, v16 dst_sel:DWORD dst_unused:UNUSED_PAD src0_sel:DWORD src1_sel:BYTE_1
	v_lshrrev_b16_e32 v76, 2, v16
	v_mul_lo_u16_e32 v16, 7, v76
	v_sub_u16_e32 v77, v62, v16
	v_mul_u32_u24_sdwa v16, v77, v17 dst_sel:DWORD dst_unused:UNUSED_PAD src0_sel:BYTE_0 src1_sel:DWORD
	v_lshlrev_b32_e32 v49, 4, v16
	global_load_dwordx4 v[16:19], v49, s[4:5]
	global_load_dwordx4 v[20:23], v49, s[4:5] offset:16
	global_load_dwordx4 v[24:27], v49, s[4:5] offset:32
	;; [unrolled: 1-line block ×5, first 2 shown]
	v_lshl_add_u32 v73, v58, 4, 0
	ds_read_b128 v[66:69], v73
	v_lshl_add_u32 v72, v56, 4, 0
	ds_read_b128 v[84:87], v72
	v_lshl_add_u32 v49, v54, 4, 0
	s_movk_i32 s24, 0xffa0
	v_mad_i32_i24 v62, v62, s24, v78
	v_mul_u32_u24_e32 v74, 0x310, v74
	s_waitcnt vmcnt(11) lgkmcnt(1)
	v_mul_f64 v[64:65], v[68:69], v[42:43]
	v_fma_f64 v[64:65], v[66:67], v[40:41], -v[64:65]
	v_mul_f64 v[66:67], v[66:67], v[42:43]
	v_fmac_f64_e32 v[66:67], v[68:69], v[40:41]
	s_waitcnt vmcnt(10) lgkmcnt(0)
	v_mul_f64 v[40:41], v[86:87], v[82:83]
	v_fma_f64 v[68:69], v[84:85], v[80:81], -v[40:41]
	ds_read_b128 v[40:43], v49
	v_mul_f64 v[70:71], v[84:85], v[82:83]
	v_fmac_f64_e32 v[70:71], v[86:87], v[80:81]
	ds_read_b128 v[78:81], v62
	ds_read_b128 v[82:85], v63 offset:6272
	s_waitcnt vmcnt(9) lgkmcnt(2)
	v_mul_f64 v[86:87], v[42:43], v[6:7]
	v_mul_f64 v[88:89], v[40:41], v[6:7]
	v_fma_f64 v[86:87], v[40:41], v[4:5], -v[86:87]
	v_fmac_f64_e32 v[88:89], v[42:43], v[4:5]
	ds_read_b128 v[4:7], v63 offset:7056
	ds_read_b128 v[40:43], v63 offset:7840
	s_waitcnt vmcnt(8) lgkmcnt(2)
	v_mul_f64 v[90:91], v[84:85], v[2:3]
	v_mul_f64 v[92:93], v[82:83], v[2:3]
	v_fma_f64 v[90:91], v[82:83], v[0:1], -v[90:91]
	v_fmac_f64_e32 v[92:93], v[84:85], v[0:1]
	ds_read_b128 v[0:3], v63 offset:8624
	s_waitcnt vmcnt(7) lgkmcnt(1)
	v_mul_f64 v[94:95], v[42:43], v[10:11]
	ds_read_b128 v[82:85], v63 offset:9408
	v_mul_f64 v[96:97], v[40:41], v[10:11]
	v_fma_f64 v[94:95], v[40:41], v[8:9], -v[94:95]
	v_fmac_f64_e32 v[96:97], v[42:43], v[8:9]
	ds_read_b128 v[8:11], v63 offset:10192
	ds_read_b128 v[40:43], v63 offset:2352
	s_waitcnt vmcnt(6) lgkmcnt(2)
	v_mul_f64 v[98:99], v[84:85], v[14:15]
	v_mul_f64 v[100:101], v[82:83], v[14:15]
	v_fma_f64 v[98:99], v[82:83], v[12:13], -v[98:99]
	v_fmac_f64_e32 v[100:101], v[84:85], v[12:13]
	ds_read_b128 v[12:15], v63
	s_waitcnt vmcnt(5) lgkmcnt(1)
	v_mul_f64 v[102:103], v[42:43], v[18:19]
	ds_read_b128 v[82:85], v63 offset:3920
	v_fma_f64 v[102:103], v[40:41], v[16:17], -v[102:103]
	v_mul_f64 v[40:41], v[40:41], v[18:19]
	v_fmac_f64_e32 v[40:41], v[42:43], v[16:17]
	ds_read_b128 v[16:19], v63 offset:5488
	s_waitcnt vmcnt(4) lgkmcnt(1)
	v_mul_f64 v[42:43], v[84:85], v[22:23]
	v_fma_f64 v[42:43], v[82:83], v[20:21], -v[42:43]
	v_mul_f64 v[82:83], v[82:83], v[22:23]
	v_fmac_f64_e32 v[82:83], v[84:85], v[20:21]
	s_waitcnt vmcnt(3) lgkmcnt(0)
	v_mul_f64 v[20:21], v[18:19], v[26:27]
	v_fma_f64 v[84:85], v[16:17], v[24:25], -v[20:21]
	v_mul_f64 v[104:105], v[16:17], v[26:27]
	s_waitcnt vmcnt(2)
	v_mul_f64 v[16:17], v[6:7], v[30:31]
	v_fma_f64 v[106:107], v[4:5], v[28:29], -v[16:17]
	v_mul_f64 v[108:109], v[4:5], v[30:31]
	s_waitcnt vmcnt(1)
	;; [unrolled: 4-line block ×3, first 2 shown]
	v_mul_f64 v[0:1], v[10:11], v[38:39]
	v_add_f64 v[16:17], v[64:65], v[98:99]
	v_add_f64 v[4:5], v[68:69], v[94:95]
	v_fmac_f64_e32 v[104:105], v[18:19], v[24:25]
	v_fmac_f64_e32 v[34:35], v[2:3], v[32:33]
	v_fma_f64 v[32:33], v[8:9], v[36:37], -v[0:1]
	v_mul_f64 v[38:39], v[8:9], v[38:39]
	v_add_f64 v[18:19], v[86:87], v[90:91]
	v_add_f64 v[0:1], v[4:5], v[16:17]
	;; [unrolled: 1-line block ×4, first 2 shown]
	v_fmac_f64_e32 v[108:109], v[6:7], v[28:29]
	v_add_f64 v[6:7], v[18:19], v[0:1]
	v_add_f64 v[22:23], v[88:89], v[92:93]
	;; [unrolled: 1-line block ×3, first 2 shown]
	v_fmac_f64_e32 v[38:39], v[10:11], v[36:37]
	v_add_f64 v[10:11], v[22:23], v[0:1]
	v_add_f64 v[0:1], v[12:13], v[6:7]
	;; [unrolled: 1-line block ×3, first 2 shown]
	v_add_f64 v[12:13], v[64:65], -v[98:99]
	v_add_f64 v[14:15], v[66:67], -v[100:101]
	;; [unrolled: 1-line block ×6, first 2 shown]
	v_mov_b64_e32 v[36:37], v[0:1]
	v_mov_b64_e32 v[64:65], v[2:3]
	v_fmac_f64_e32 v[36:37], s[18:19], v[6:7]
	v_fmac_f64_e32 v[64:65], s[18:19], v[10:11]
	v_add_f64 v[66:67], v[4:5], -v[16:17]
	v_add_f64 v[68:69], v[18:19], -v[4:5]
	;; [unrolled: 1-line block ×4, first 2 shown]
	v_add_f64 v[4:5], v[28:29], v[24:25]
	v_add_f64 v[6:7], v[28:29], -v[24:25]
	v_add_f64 v[24:25], v[24:25], -v[12:13]
	v_add_f64 v[8:9], v[30:31], v[26:27]
	v_add_f64 v[10:11], v[30:31], -v[26:27]
	v_add_f64 v[26:27], v[26:27], -v[14:15]
	;; [unrolled: 1-line block ×4, first 2 shown]
	v_add_f64 v[88:89], v[4:5], v[12:13]
	v_add_f64 v[90:91], v[8:9], v[14:15]
	v_mul_f64 v[92:93], v[6:7], s[22:23]
	v_mul_f64 v[94:95], v[10:11], s[22:23]
	v_add_f64 v[20:21], v[12:13], -v[28:29]
	v_add_f64 v[22:23], v[14:15], -v[30:31]
	v_mul_f64 v[28:29], v[16:17], s[12:13]
	v_mul_f64 v[30:31], v[18:19], s[12:13]
	;; [unrolled: 1-line block ×6, first 2 shown]
	v_fma_f64 v[96:97], v[24:25], s[6:7], -v[92:93]
	v_fma_f64 v[98:99], v[26:27], s[6:7], -v[94:95]
	;; [unrolled: 1-line block ×8, first 2 shown]
	v_add_f64 v[16:17], v[16:17], v[36:37]
	v_add_f64 v[18:19], v[18:19], v[64:65]
	v_fmac_f64_e32 v[24:25], s[2:3], v[88:89]
	v_fmac_f64_e32 v[26:27], s[2:3], v[90:91]
	v_fmac_f64_e32 v[28:29], s[0:1], v[68:69]
	v_fmac_f64_e32 v[30:31], s[0:1], v[86:87]
	v_add_f64 v[8:9], v[4:5], v[36:37]
	v_add_f64 v[10:11], v[6:7], v[64:65]
	;; [unrolled: 1-line block ×3, first 2 shown]
	v_add_f64 v[14:15], v[18:19], -v[24:25]
	v_add_f64 v[16:17], v[16:17], -v[26:27]
	v_add_f64 v[18:19], v[24:25], v[18:19]
	v_add_f64 v[24:25], v[28:29], v[36:37]
	;; [unrolled: 1-line block ×5, first 2 shown]
	v_fmac_f64_e32 v[92:93], s[10:11], v[20:21]
	v_add_f64 v[66:67], v[84:85], v[106:107]
	v_add_f64 v[28:29], v[36:37], v[64:65]
	;; [unrolled: 1-line block ×4, first 2 shown]
	v_fmac_f64_e32 v[96:97], s[2:3], v[88:89]
	v_fmac_f64_e32 v[94:95], s[10:11], v[22:23]
	;; [unrolled: 1-line block ×3, first 2 shown]
	v_add_f64 v[68:69], v[66:67], v[28:29]
	v_add_f64 v[88:89], v[104:105], v[108:109]
	;; [unrolled: 1-line block ×3, first 2 shown]
	v_fmac_f64_e32 v[98:99], s[2:3], v[90:91]
	v_fmac_f64_e32 v[94:95], s[2:3], v[90:91]
	v_add_f64 v[90:91], v[88:89], v[28:29]
	v_add_f64 v[28:29], v[78:79], v[68:69]
	;; [unrolled: 1-line block ×3, first 2 shown]
	v_add_f64 v[34:35], v[82:83], -v[34:35]
	v_mov_b64_e32 v[82:83], v[28:29]
	v_add_f64 v[78:79], v[102:103], -v[32:33]
	v_add_f64 v[32:33], v[42:43], -v[110:111]
	;; [unrolled: 1-line block ×4, first 2 shown]
	v_fmac_f64_e32 v[82:83], s[18:19], v[68:69]
	v_mov_b64_e32 v[68:69], v[30:31]
	v_add_f64 v[20:21], v[94:95], v[24:25]
	v_add_f64 v[24:25], v[24:25], -v[94:95]
	v_add_f64 v[40:41], v[40:41], -v[38:39]
	v_fmac_f64_e32 v[68:69], s[18:19], v[90:91]
	v_add_f64 v[84:85], v[36:37], -v[64:65]
	v_add_f64 v[90:91], v[66:67], -v[36:37]
	v_add_f64 v[36:37], v[42:43], v[32:33]
	v_add_f64 v[38:39], v[42:43], -v[32:33]
	v_add_f64 v[94:95], v[32:33], -v[78:79]
	v_add_f64 v[32:33], v[80:81], v[34:35]
	;; [unrolled: 3-line block ×3, first 2 shown]
	v_add_f64 v[8:9], v[98:99], v[8:9]
	v_add_f64 v[10:11], v[10:11], -v[96:97]
	v_add_f64 v[22:23], v[26:27], -v[92:93]
	v_add_f64 v[26:27], v[92:93], v[26:27]
	v_add_f64 v[92:93], v[86:87], -v[70:71]
	v_add_f64 v[86:87], v[88:89], -v[86:87]
	;; [unrolled: 1-line block ×4, first 2 shown]
	v_add_f64 v[100:101], v[36:37], v[78:79]
	v_add_f64 v[102:103], v[32:33], v[40:41]
	v_mul_f64 v[32:33], v[90:91], s[0:1]
	v_add_f64 v[66:67], v[70:71], -v[88:89]
	v_add_f64 v[70:71], v[78:79], -v[42:43]
	;; [unrolled: 1-line block ×3, first 2 shown]
	v_mul_f64 v[80:81], v[64:65], s[12:13]
	v_mul_f64 v[96:97], v[96:97], s[22:23]
	v_fma_f64 v[32:33], v[84:85], s[20:21], -v[32:33]
	v_mul_f64 v[34:35], v[86:87], s[0:1]
	v_mul_f64 v[88:89], v[66:67], s[12:13]
	v_mul_f64 v[42:43], v[98:99], s[6:7]
	v_fma_f64 v[64:65], v[84:85], s[14:15], -v[80:81]
	v_fmac_f64_e32 v[80:81], s[0:1], v[90:91]
	v_fma_f64 v[34:35], v[92:93], s[20:21], -v[34:35]
	v_add_f64 v[36:37], v[32:33], v[82:83]
	v_fma_f64 v[108:109], v[98:99], s[6:7], -v[96:97]
	v_fma_f64 v[66:67], v[92:93], s[14:15], -v[88:89]
	;; [unrolled: 1-line block ×3, first 2 shown]
	v_add_f64 v[64:65], v[64:65], v[82:83]
	v_fmac_f64_e32 v[96:97], s[10:11], v[78:79]
	v_add_f64 v[78:79], v[80:81], v[82:83]
	v_mov_b32_e32 v82, 4
	v_lshlrev_b32_sdwa v75, v82, v75 dst_sel:DWORD dst_unused:UNUSED_PAD src0_sel:DWORD src1_sel:BYTE_0
	v_mul_f64 v[104:105], v[38:39], s[22:23]
	v_mul_f64 v[40:41], v[94:95], s[6:7]
	v_add3_u32 v74, 0, v74, v75
	v_fma_f64 v[106:107], v[94:95], s[6:7], -v[104:105]
	v_fma_f64 v[84:85], v[70:71], s[16:17], -v[40:41]
	v_fmac_f64_e32 v[88:89], s[0:1], v[86:87]
	v_fmac_f64_e32 v[104:105], s[10:11], v[70:71]
	s_waitcnt lgkmcnt(0)
	; wave barrier
	ds_write_b128 v74, v[0:3]
	ds_write_b128 v74, v[20:23] offset:112
	ds_write_b128 v74, v[12:15] offset:224
	;; [unrolled: 1-line block ×6, first 2 shown]
	v_mul_u32_u24_e32 v0, 0x310, v76
	v_lshlrev_b32_sdwa v1, v82, v77 dst_sel:DWORD dst_unused:UNUSED_PAD src0_sel:DWORD src1_sel:BYTE_0
	v_add_f64 v[38:39], v[34:35], v[68:69]
	v_fmac_f64_e32 v[106:107], s[2:3], v[100:101]
	v_fmac_f64_e32 v[108:109], s[2:3], v[102:103]
	v_add_f64 v[66:67], v[66:67], v[68:69]
	v_fmac_f64_e32 v[84:85], s[2:3], v[100:101]
	v_fmac_f64_e32 v[92:93], s[2:3], v[102:103]
	;; [unrolled: 3-line block ×3, first 2 shown]
	v_add3_u32 v0, 0, v0, v1
	v_add_f64 v[32:33], v[36:37], -v[108:109]
	v_add_f64 v[34:35], v[106:107], v[38:39]
	v_add_f64 v[36:37], v[108:109], v[36:37]
	v_add_f64 v[38:39], v[38:39], -v[106:107]
	v_add_f64 v[40:41], v[92:93], v[64:65]
	v_add_f64 v[42:43], v[66:67], -v[84:85]
	v_add_f64 v[64:65], v[64:65], -v[92:93]
	v_add_f64 v[66:67], v[84:85], v[66:67]
	v_add_f64 v[68:69], v[96:97], v[78:79]
	v_add_f64 v[70:71], v[80:81], -v[104:105]
	v_add_f64 v[78:79], v[78:79], -v[96:97]
	v_add_f64 v[80:81], v[104:105], v[80:81]
	ds_write_b128 v0, v[28:31]
	ds_write_b128 v0, v[68:71] offset:112
	ds_write_b128 v0, v[40:43] offset:224
	;; [unrolled: 1-line block ×6, first 2 shown]
	v_mul_u32_u24_e32 v0, 6, v44
	v_lshlrev_b32_e32 v16, 4, v0
	s_waitcnt lgkmcnt(0)
	; wave barrier
	s_waitcnt lgkmcnt(0)
	global_load_dwordx4 v[32:35], v16, s[4:5] offset:672
	global_load_dwordx4 v[36:39], v16, s[4:5] offset:688
	;; [unrolled: 1-line block ×6, first 2 shown]
	ds_read_b128 v[22:25], v73
	ds_read_b128 v[26:29], v72
	ds_read_b128 v[40:43], v63 offset:3920
	ds_read_b128 v[16:19], v63 offset:5488
	;; [unrolled: 1-line block ×3, first 2 shown]
	ds_read_b128 v[68:71], v63
	s_waitcnt vmcnt(5) lgkmcnt(5)
	v_mul_f64 v[20:21], v[24:25], v[34:35]
	v_fma_f64 v[20:21], v[22:23], v[32:33], -v[20:21]
	v_mul_f64 v[22:23], v[22:23], v[34:35]
	v_fmac_f64_e32 v[22:23], v[24:25], v[32:33]
	s_waitcnt vmcnt(4) lgkmcnt(4)
	v_mul_f64 v[24:25], v[28:29], v[38:39]
	v_fma_f64 v[24:25], v[26:27], v[36:37], -v[24:25]
	v_mul_f64 v[26:27], v[26:27], v[38:39]
	v_fmac_f64_e32 v[26:27], v[28:29], v[36:37]
	s_waitcnt lgkmcnt(1)
	v_mul_f64 v[28:29], v[66:67], v[34:35]
	v_mul_f64 v[30:31], v[64:65], v[34:35]
	v_fma_f64 v[28:29], v[64:65], v[32:33], -v[28:29]
	v_fmac_f64_e32 v[30:31], v[66:67], v[32:33]
	ds_read_b128 v[64:67], v49
	v_mul_f64 v[32:33], v[42:43], v[38:39]
	v_mul_f64 v[34:35], v[40:41], v[38:39]
	v_fma_f64 v[32:33], v[40:41], v[36:37], -v[32:33]
	v_fmac_f64_e32 v[34:35], v[42:43], v[36:37]
	ds_read_b128 v[36:39], v62
	s_waitcnt vmcnt(3) lgkmcnt(1)
	v_mul_f64 v[40:41], v[66:67], v[6:7]
	v_fma_f64 v[74:75], v[64:65], v[4:5], -v[40:41]
	v_mul_f64 v[64:65], v[64:65], v[6:7]
	ds_read_b128 v[40:43], v63 offset:6272
	v_fmac_f64_e32 v[64:65], v[66:67], v[4:5]
	v_mul_f64 v[66:67], v[18:19], v[6:7]
	v_mul_f64 v[76:77], v[16:17], v[6:7]
	v_fma_f64 v[66:67], v[16:17], v[4:5], -v[66:67]
	v_fmac_f64_e32 v[76:77], v[18:19], v[4:5]
	ds_read_b128 v[4:7], v63 offset:7056
	s_waitcnt vmcnt(2) lgkmcnt(1)
	v_mul_f64 v[16:17], v[42:43], v[2:3]
	v_fma_f64 v[78:79], v[40:41], v[0:1], -v[16:17]
	v_mul_f64 v[40:41], v[40:41], v[2:3]
	ds_read_b128 v[16:19], v63 offset:7840
	v_fmac_f64_e32 v[40:41], v[42:43], v[0:1]
	s_waitcnt lgkmcnt(1)
	v_mul_f64 v[42:43], v[6:7], v[2:3]
	v_mul_f64 v[80:81], v[4:5], v[2:3]
	v_fma_f64 v[42:43], v[4:5], v[0:1], -v[42:43]
	v_fmac_f64_e32 v[80:81], v[6:7], v[0:1]
	ds_read_b128 v[0:3], v63 offset:8624
	s_waitcnt vmcnt(1) lgkmcnt(1)
	v_mul_f64 v[4:5], v[18:19], v[10:11]
	v_fma_f64 v[82:83], v[16:17], v[8:9], -v[4:5]
	v_mul_f64 v[16:17], v[16:17], v[10:11]
	ds_read_b128 v[4:7], v63 offset:9408
	v_fmac_f64_e32 v[16:17], v[18:19], v[8:9]
	s_waitcnt lgkmcnt(1)
	v_mul_f64 v[18:19], v[2:3], v[10:11]
	v_mul_f64 v[86:87], v[0:1], v[10:11]
	v_fma_f64 v[84:85], v[0:1], v[8:9], -v[18:19]
	v_fmac_f64_e32 v[86:87], v[2:3], v[8:9]
	ds_read_b128 v[0:3], v63 offset:10192
	s_waitcnt vmcnt(0) lgkmcnt(1)
	v_mul_f64 v[8:9], v[6:7], v[14:15]
	v_fma_f64 v[8:9], v[4:5], v[12:13], -v[8:9]
	v_mul_f64 v[4:5], v[4:5], v[14:15]
	v_fmac_f64_e32 v[4:5], v[6:7], v[12:13]
	s_waitcnt lgkmcnt(0)
	v_mul_f64 v[6:7], v[2:3], v[14:15]
	v_mul_f64 v[90:91], v[0:1], v[14:15]
	v_fma_f64 v[88:89], v[0:1], v[12:13], -v[6:7]
	v_fmac_f64_e32 v[90:91], v[2:3], v[12:13]
	v_add_f64 v[12:13], v[20:21], v[8:9]
	v_add_f64 v[6:7], v[24:25], v[82:83]
	;; [unrolled: 1-line block ×12, first 2 shown]
	v_add_f64 v[20:21], v[20:21], -v[8:9]
	v_add_f64 v[22:23], v[22:23], -v[4:5]
	;; [unrolled: 1-line block ×6, first 2 shown]
	v_mov_b64_e32 v[26:27], v[0:1]
	v_fmac_f64_e32 v[26:27], s[18:19], v[10:11]
	v_mov_b64_e32 v[40:41], v[2:3]
	v_add_f64 v[64:65], v[6:7], -v[12:13]
	v_add_f64 v[68:69], v[14:15], -v[6:7]
	v_add_f64 v[6:7], v[16:17], v[4:5]
	v_add_f64 v[10:11], v[16:17], -v[4:5]
	v_add_f64 v[78:79], v[4:5], -v[20:21]
	v_add_f64 v[4:5], v[24:25], v[8:9]
	v_add_f64 v[12:13], v[12:13], -v[14:15]
	v_add_f64 v[14:15], v[18:19], -v[94:95]
	v_fmac_f64_e32 v[40:41], s[18:19], v[96:97]
	v_add_f64 v[70:71], v[92:93], -v[18:19]
	v_add_f64 v[74:75], v[94:95], -v[92:93]
	;; [unrolled: 1-line block ×4, first 2 shown]
	v_add_f64 v[96:97], v[6:7], v[20:21]
	v_add_f64 v[98:99], v[4:5], v[22:23]
	v_mul_f64 v[4:5], v[68:69], s[0:1]
	v_add_f64 v[20:21], v[20:21], -v[16:17]
	v_add_f64 v[22:23], v[22:23], -v[24:25]
	v_mul_f64 v[24:25], v[12:13], s[12:13]
	v_mul_f64 v[94:95], v[14:15], s[12:13]
	;; [unrolled: 1-line block ×3, first 2 shown]
	v_fma_f64 v[4:5], v[64:65], s[20:21], -v[4:5]
	v_mul_f64 v[6:7], v[74:75], s[0:1]
	v_mul_f64 v[14:15], v[92:93], s[6:7]
	v_fma_f64 v[16:17], v[64:65], s[14:15], -v[24:25]
	v_fma_f64 v[18:19], v[70:71], s[14:15], -v[94:95]
	;; [unrolled: 1-line block ×3, first 2 shown]
	v_mul_f64 v[82:83], v[82:83], s[22:23]
	v_fma_f64 v[6:7], v[70:71], s[20:21], -v[6:7]
	v_fma_f64 v[70:71], v[22:23], s[16:17], -v[14:15]
	v_add_f64 v[18:19], v[18:19], v[40:41]
	v_fmac_f64_e32 v[64:65], s[2:3], v[96:97]
	v_fmac_f64_e32 v[24:25], s[0:1], v[68:69]
	;; [unrolled: 1-line block ×3, first 2 shown]
	v_mul_f64 v[100:101], v[10:11], s[22:23]
	v_add_f64 v[8:9], v[4:5], v[26:27]
	v_add_f64 v[10:11], v[6:7], v[40:41]
	v_fma_f64 v[104:105], v[92:93], s[6:7], -v[82:83]
	v_add_f64 v[16:17], v[16:17], v[26:27]
	v_fmac_f64_e32 v[70:71], s[2:3], v[98:99]
	v_add_f64 v[14:15], v[18:19], -v[64:65]
	v_add_f64 v[18:19], v[64:65], v[18:19]
	v_fmac_f64_e32 v[82:83], s[10:11], v[22:23]
	v_add_f64 v[24:25], v[24:25], v[26:27]
	v_add_f64 v[26:27], v[94:95], v[40:41]
	;; [unrolled: 1-line block ×4, first 2 shown]
	v_fma_f64 v[102:103], v[78:79], s[6:7], -v[100:101]
	v_add_f64 v[12:13], v[70:71], v[16:17]
	v_add_f64 v[16:17], v[16:17], -v[70:71]
	v_fmac_f64_e32 v[82:83], s[2:3], v[98:99]
	v_add_f64 v[68:69], v[66:67], v[42:43]
	v_add_f64 v[70:71], v[64:65], v[40:41]
	;; [unrolled: 1-line block ×4, first 2 shown]
	v_fmac_f64_e32 v[100:101], s[10:11], v[20:21]
	v_add_f64 v[20:21], v[82:83], v[24:25]
	v_add_f64 v[24:25], v[24:25], -v[82:83]
	v_add_f64 v[70:71], v[68:69], v[70:71]
	v_add_f64 v[82:83], v[76:77], v[80:81]
	;; [unrolled: 1-line block ×6, first 2 shown]
	v_add_f64 v[88:89], v[28:29], -v[88:89]
	v_add_f64 v[90:91], v[30:31], -v[90:91]
	;; [unrolled: 1-line block ×6, first 2 shown]
	v_mov_b64_e32 v[76:77], v[36:37]
	v_fmac_f64_e32 v[100:101], s[2:3], v[96:97]
	v_fmac_f64_e32 v[76:77], s[18:19], v[70:71]
	v_mov_b64_e32 v[70:71], v[38:39]
	v_add_f64 v[80:81], v[64:65], -v[40:41]
	v_add_f64 v[84:85], v[68:69], -v[64:65]
	;; [unrolled: 1-line block ×4, first 2 shown]
	v_add_f64 v[32:33], v[42:43], v[28:29]
	v_add_f64 v[34:35], v[42:43], -v[28:29]
	v_add_f64 v[86:87], v[28:29], -v[88:89]
	v_add_f64 v[28:29], v[66:67], v[30:31]
	v_add_f64 v[94:95], v[30:31], -v[90:91]
	v_add_f64 v[40:41], v[40:41], -v[68:69]
	;; [unrolled: 1-line block ×3, first 2 shown]
	v_fmac_f64_e32 v[102:103], s[2:3], v[96:97]
	v_fmac_f64_e32 v[104:105], s[2:3], v[98:99]
	v_add_f64 v[22:23], v[26:27], -v[100:101]
	v_add_f64 v[26:27], v[100:101], v[26:27]
	v_fmac_f64_e32 v[70:71], s[18:19], v[92:93]
	v_add_f64 v[92:93], v[66:67], -v[30:31]
	v_add_f64 v[96:97], v[32:33], v[88:89]
	v_add_f64 v[98:99], v[28:29], v[90:91]
	v_mul_f64 v[100:101], v[34:35], s[22:23]
	v_mul_f64 v[28:29], v[84:85], s[0:1]
	v_mul_f64 v[30:31], v[78:79], s[0:1]
	v_add_f64 v[74:75], v[88:89], -v[42:43]
	v_add_f64 v[82:83], v[90:91], -v[66:67]
	v_mul_f64 v[88:89], v[40:41], s[12:13]
	v_mul_f64 v[68:69], v[68:69], s[12:13]
	;; [unrolled: 1-line block ×4, first 2 shown]
	v_add_f64 v[6:7], v[102:103], v[10:11]
	v_add_f64 v[10:11], v[10:11], -v[102:103]
	v_fma_f64 v[28:29], v[80:81], s[20:21], -v[28:29]
	v_fma_f64 v[30:31], v[64:65], s[20:21], -v[30:31]
	;; [unrolled: 1-line block ×7, first 2 shown]
	v_mul_f64 v[92:93], v[92:93], s[22:23]
	v_add_f64 v[66:67], v[66:67], v[76:77]
	v_add_f64 v[90:91], v[64:65], v[70:71]
	v_fmac_f64_e32 v[80:81], s[2:3], v[96:97]
	v_fmac_f64_e32 v[86:87], s[2:3], v[98:99]
	v_add_f64 v[4:5], v[8:9], -v[104:105]
	v_add_f64 v[8:9], v[104:105], v[8:9]
	v_fma_f64 v[104:105], v[94:95], s[6:7], -v[92:93]
	v_add_f64 v[40:41], v[86:87], v[66:67]
	v_add_f64 v[42:43], v[90:91], -v[80:81]
	v_add_f64 v[64:65], v[66:67], -v[86:87]
	v_add_f64 v[66:67], v[80:81], v[90:91]
	v_fma_f64 v[80:81], s[0:1], v[84:85], v[88:89]
	v_fmac_f64_e32 v[68:69], s[0:1], v[78:79]
	v_fma_f64 v[78:79], s[10:11], v[74:75], v[100:101]
	v_fmac_f64_e32 v[92:93], s[10:11], v[82:83]
	v_add_f64 v[32:33], v[28:29], v[76:77]
	v_add_f64 v[34:35], v[30:31], v[70:71]
	v_fmac_f64_e32 v[102:103], s[2:3], v[96:97]
	v_fmac_f64_e32 v[104:105], s[2:3], v[98:99]
	v_add_f64 v[74:75], v[80:81], v[76:77]
	v_add_f64 v[76:77], v[68:69], v[70:71]
	v_fmac_f64_e32 v[78:79], s[2:3], v[96:97]
	v_fmac_f64_e32 v[92:93], s[2:3], v[98:99]
	v_add_f64 v[28:29], v[32:33], -v[104:105]
	v_add_f64 v[30:31], v[102:103], v[34:35]
	v_add_f64 v[32:33], v[104:105], v[32:33]
	v_add_f64 v[34:35], v[34:35], -v[102:103]
	v_add_f64 v[68:69], v[92:93], v[74:75]
	v_add_f64 v[70:71], v[76:77], -v[78:79]
	v_add_f64 v[74:75], v[74:75], -v[92:93]
	v_add_f64 v[76:77], v[78:79], v[76:77]
	s_waitcnt lgkmcnt(0)
	; wave barrier
	ds_write_b128 v63, v[0:3]
	ds_write_b128 v63, v[20:23] offset:784
	ds_write_b128 v63, v[12:15] offset:1568
	;; [unrolled: 1-line block ×13, first 2 shown]
	v_lshl_add_u64 v[0:1], v[44:45], 4, s[4:5]
	s_movk_i32 s2, 0x1000
	v_add_co_u32_e64 v8, s[0:1], s2, v0
	s_waitcnt lgkmcnt(0)
	s_nop 0
	v_addc_co_u32_e64 v9, s[0:1], 0, v1, s[0:1]
	v_lshl_add_u64 v[0:1], v[60:61], 4, s[4:5]
	v_add_co_u32_e64 v10, s[0:1], s2, v0
	; wave barrier
	s_nop 1
	v_addc_co_u32_e64 v11, s[0:1], 0, v1, s[0:1]
	global_load_dwordx4 v[0:3], v[8:9], off offset:1280
	global_load_dwordx4 v[4:7], v[10:11], off offset:1280
	v_lshl_add_u64 v[8:9], v[58:59], 4, s[4:5]
	v_add_co_u32_e64 v8, s[0:1], s2, v8
	v_lshl_add_u64 v[12:13], v[50:51], 4, s[4:5]
	s_nop 0
	v_addc_co_u32_e64 v9, s[0:1], 0, v9, s[0:1]
	global_load_dwordx4 v[8:11], v[8:9], off offset:1280
	v_add_co_u32_e64 v12, s[0:1], s2, v12
	v_lshl_add_u64 v[16:17], v[56:57], 4, s[4:5]
	s_nop 0
	v_addc_co_u32_e64 v13, s[0:1], 0, v13, s[0:1]
	global_load_dwordx4 v[12:15], v[12:13], off offset:1280
	v_add_co_u32_e64 v16, s[0:1], s2, v16
	v_lshl_add_u64 v[20:21], v[52:53], 4, s[4:5]
	s_nop 0
	v_addc_co_u32_e64 v17, s[0:1], 0, v17, s[0:1]
	v_add_co_u32_e64 v20, s[0:1], s2, v20
	global_load_dwordx4 v[16:19], v[16:17], off offset:1280
	s_nop 0
	v_addc_co_u32_e64 v21, s[0:1], 0, v21, s[0:1]
	global_load_dwordx4 v[20:23], v[20:21], off offset:1280
	v_lshl_add_u64 v[24:25], v[54:55], 4, s[4:5]
	v_add_co_u32_e64 v24, s[0:1], s2, v24
	v_lshl_add_u32 v45, v50, 4, 0
	s_nop 0
	v_addc_co_u32_e64 v25, s[0:1], 0, v25, s[0:1]
	global_load_dwordx4 v[24:27], v[24:25], off offset:1280
	ds_read_b128 v[28:31], v63 offset:5488
	ds_read_b128 v[32:35], v63
	ds_read_b128 v[36:39], v63 offset:6272
	ds_read_b128 v[40:43], v63 offset:7056
	v_lshl_add_u32 v74, v52, 4, 0
	s_waitcnt vmcnt(6) lgkmcnt(3)
	v_mul_f64 v[54:55], v[30:31], v[2:3]
	v_fma_f64 v[54:55], v[28:29], v[0:1], -v[54:55]
	v_mul_f64 v[28:29], v[28:29], v[2:3]
	v_fmac_f64_e32 v[28:29], v[30:31], v[0:1]
	s_waitcnt vmcnt(5) lgkmcnt(1)
	v_mul_f64 v[0:1], v[38:39], v[6:7]
	v_fma_f64 v[30:31], v[36:37], v[4:5], -v[0:1]
	v_mul_f64 v[36:37], v[36:37], v[6:7]
	v_fmac_f64_e32 v[36:37], v[38:39], v[4:5]
	ds_read_b128 v[0:3], v63 offset:7840
	ds_read_b128 v[4:7], v63 offset:8624
	s_waitcnt vmcnt(4) lgkmcnt(2)
	v_mul_f64 v[38:39], v[42:43], v[10:11]
	v_fma_f64 v[38:39], v[40:41], v[8:9], -v[38:39]
	v_mul_f64 v[40:41], v[40:41], v[10:11]
	v_fmac_f64_e32 v[40:41], v[42:43], v[8:9]
	s_waitcnt vmcnt(3) lgkmcnt(1)
	v_mul_f64 v[8:9], v[2:3], v[14:15]
	v_mul_f64 v[56:57], v[0:1], v[14:15]
	v_fma_f64 v[42:43], v[0:1], v[12:13], -v[8:9]
	v_fmac_f64_e32 v[56:57], v[2:3], v[12:13]
	ds_read_b128 v[0:3], v63 offset:9408
	ds_read_b128 v[8:11], v63 offset:10192
	s_waitcnt vmcnt(2) lgkmcnt(2)
	v_mul_f64 v[12:13], v[6:7], v[18:19]
	v_fma_f64 v[58:59], v[4:5], v[16:17], -v[12:13]
	v_mul_f64 v[60:61], v[4:5], v[18:19]
	s_waitcnt vmcnt(1) lgkmcnt(1)
	v_mul_f64 v[4:5], v[2:3], v[22:23]
	v_mul_f64 v[66:67], v[0:1], v[22:23]
	v_fmac_f64_e32 v[60:61], v[6:7], v[16:17]
	v_fma_f64 v[64:65], v[0:1], v[20:21], -v[4:5]
	v_fmac_f64_e32 v[66:67], v[2:3], v[20:21]
	ds_read_b128 v[0:3], v62
	ds_read_b128 v[4:7], v49
	;; [unrolled: 1-line block ×3, first 2 shown]
	s_waitcnt vmcnt(0) lgkmcnt(3)
	v_mul_f64 v[12:13], v[10:11], v[26:27]
	v_mul_f64 v[70:71], v[8:9], v[26:27]
	v_fma_f64 v[68:69], v[8:9], v[24:25], -v[12:13]
	v_fmac_f64_e32 v[70:71], v[10:11], v[24:25]
	v_add_f64 v[8:9], v[32:33], -v[54:55]
	v_add_f64 v[10:11], v[34:35], -v[28:29]
	v_fma_f64 v[12:13], v[32:33], 2.0, -v[8:9]
	v_fma_f64 v[14:15], v[34:35], 2.0, -v[10:11]
	s_waitcnt lgkmcnt(2)
	v_add_f64 v[18:19], v[2:3], -v[36:37]
	ds_read_b128 v[24:27], v72
	ds_read_b128 v[32:35], v45
	s_waitcnt lgkmcnt(2)
	v_add_f64 v[28:29], v[20:21], -v[38:39]
	ds_read_b128 v[36:39], v74
	v_add_f64 v[16:17], v[0:1], -v[30:31]
	v_add_f64 v[30:31], v[22:23], -v[40:41]
	s_waitcnt lgkmcnt(1)
	v_add_f64 v[40:41], v[32:33], -v[42:43]
	v_add_f64 v[42:43], v[34:35], -v[56:57]
	;; [unrolled: 1-line block ×4, first 2 shown]
	s_waitcnt lgkmcnt(0)
	v_add_f64 v[54:55], v[36:37], -v[64:65]
	v_add_f64 v[56:57], v[38:39], -v[66:67]
	;; [unrolled: 1-line block ×4, first 2 shown]
	v_fma_f64 v[0:1], v[0:1], 2.0, -v[16:17]
	v_fma_f64 v[2:3], v[2:3], 2.0, -v[18:19]
	;; [unrolled: 1-line block ×12, first 2 shown]
	s_waitcnt lgkmcnt(0)
	; wave barrier
	ds_write_b128 v63, v[12:15]
	ds_write_b128 v63, v[8:11] offset:5488
	ds_write_b128 v62, v[0:3]
	ds_write_b128 v62, v[16:19] offset:5488
	ds_write_b128 v73, v[20:23]
	ds_write_b128 v73, v[28:31] offset:5488
	ds_write_b128 v45, v[32:35]
	ds_write_b128 v45, v[40:43] offset:5488
	ds_write_b128 v72, v[24:27]
	ds_write_b128 v72, v[50:53] offset:5488
	ds_write_b128 v74, v[36:39]
	ds_write_b128 v74, v[54:57] offset:5488
	ds_write_b128 v49, v[4:7]
	ds_write_b128 v49, v[58:61] offset:5488
	s_waitcnt lgkmcnt(0)
	; wave barrier
	s_waitcnt lgkmcnt(0)
	s_and_saveexec_b64 s[0:1], vcc
	s_cbranch_execz .LBB0_15
; %bb.14:
	v_mad_u64_u32 v[4:5], s[0:1], s8, v44, 0
	ds_read_b128 v[0:3], v63
	v_mov_b32_e32 v6, v5
	v_mad_u64_u32 v[6:7], s[0:1], s9, v44, v[6:7]
	v_mov_b32_e32 v5, v6
	v_lshl_add_u64 v[8:9], v[4:5], 4, v[46:47]
	ds_read_b128 v[4:7], v63 offset:784
	s_waitcnt lgkmcnt(1)
	global_store_dwordx4 v[8:9], v[0:3], off
	s_nop 1
	v_mad_u64_u32 v[0:1], s[0:1], s8, v48, 0
	v_mov_b32_e32 v2, v1
	v_mad_u64_u32 v[2:3], s[0:1], s9, v48, v[2:3]
	v_mov_b32_e32 v1, v2
	v_lshl_add_u64 v[0:1], v[0:1], 4, v[46:47]
	s_waitcnt lgkmcnt(0)
	global_store_dwordx4 v[0:1], v[4:7], off
	ds_read_b128 v[0:3], v63 offset:1568
	s_nop 0
	v_add_u32_e32 v7, 0x62, v44
	v_mad_u64_u32 v[4:5], s[0:1], s8, v7, 0
	v_mov_b32_e32 v6, v5
	v_mad_u64_u32 v[6:7], s[0:1], s9, v7, v[6:7]
	v_mov_b32_e32 v5, v6
	v_lshl_add_u64 v[8:9], v[4:5], 4, v[46:47]
	ds_read_b128 v[4:7], v63 offset:2352
	s_waitcnt lgkmcnt(1)
	global_store_dwordx4 v[8:9], v[0:3], off
	s_nop 1
	v_add_u32_e32 v3, 0x93, v44
	v_mad_u64_u32 v[0:1], s[0:1], s8, v3, 0
	v_mov_b32_e32 v2, v1
	v_mad_u64_u32 v[2:3], s[0:1], s9, v3, v[2:3]
	v_mov_b32_e32 v1, v2
	v_lshl_add_u64 v[0:1], v[0:1], 4, v[46:47]
	s_waitcnt lgkmcnt(0)
	global_store_dwordx4 v[0:1], v[4:7], off
	ds_read_b128 v[0:3], v63 offset:3136
	s_nop 0
	v_add_u32_e32 v7, 0xc4, v44
	v_mad_u64_u32 v[4:5], s[0:1], s8, v7, 0
	v_mov_b32_e32 v6, v5
	v_mad_u64_u32 v[6:7], s[0:1], s9, v7, v[6:7]
	v_mov_b32_e32 v5, v6
	v_lshl_add_u64 v[8:9], v[4:5], 4, v[46:47]
	ds_read_b128 v[4:7], v63 offset:3920
	s_waitcnt lgkmcnt(1)
	global_store_dwordx4 v[8:9], v[0:3], off
	s_nop 1
	v_add_u32_e32 v3, 0xf5, v44
	;; [unrolled: 20-line block ×6, first 2 shown]
	v_mad_u64_u32 v[0:1], s[0:1], s8, v3, 0
	v_mov_b32_e32 v2, v1
	v_mad_u64_u32 v[2:3], s[0:1], s9, v3, v[2:3]
	v_mov_b32_e32 v1, v2
	v_lshl_add_u64 v[0:1], v[0:1], 4, v[46:47]
	s_waitcnt lgkmcnt(0)
	global_store_dwordx4 v[0:1], v[4:7], off
.LBB0_15:
	s_endpgm
	.section	.rodata,"a",@progbits
	.p2align	6, 0x0
	.amdhsa_kernel fft_rtc_fwd_len686_factors_7_7_7_2_wgs_49_tpt_49_dp_ip_CI_sbrr_dirReg
		.amdhsa_group_segment_fixed_size 0
		.amdhsa_private_segment_fixed_size 0
		.amdhsa_kernarg_size 88
		.amdhsa_user_sgpr_count 2
		.amdhsa_user_sgpr_dispatch_ptr 0
		.amdhsa_user_sgpr_queue_ptr 0
		.amdhsa_user_sgpr_kernarg_segment_ptr 1
		.amdhsa_user_sgpr_dispatch_id 0
		.amdhsa_user_sgpr_kernarg_preload_length 0
		.amdhsa_user_sgpr_kernarg_preload_offset 0
		.amdhsa_user_sgpr_private_segment_size 0
		.amdhsa_uses_dynamic_stack 0
		.amdhsa_enable_private_segment 0
		.amdhsa_system_sgpr_workgroup_id_x 1
		.amdhsa_system_sgpr_workgroup_id_y 0
		.amdhsa_system_sgpr_workgroup_id_z 0
		.amdhsa_system_sgpr_workgroup_info 0
		.amdhsa_system_vgpr_workitem_id 0
		.amdhsa_next_free_vgpr 112
		.amdhsa_next_free_sgpr 25
		.amdhsa_accum_offset 112
		.amdhsa_reserve_vcc 1
		.amdhsa_float_round_mode_32 0
		.amdhsa_float_round_mode_16_64 0
		.amdhsa_float_denorm_mode_32 3
		.amdhsa_float_denorm_mode_16_64 3
		.amdhsa_dx10_clamp 1
		.amdhsa_ieee_mode 1
		.amdhsa_fp16_overflow 0
		.amdhsa_tg_split 0
		.amdhsa_exception_fp_ieee_invalid_op 0
		.amdhsa_exception_fp_denorm_src 0
		.amdhsa_exception_fp_ieee_div_zero 0
		.amdhsa_exception_fp_ieee_overflow 0
		.amdhsa_exception_fp_ieee_underflow 0
		.amdhsa_exception_fp_ieee_inexact 0
		.amdhsa_exception_int_div_zero 0
	.end_amdhsa_kernel
	.text
.Lfunc_end0:
	.size	fft_rtc_fwd_len686_factors_7_7_7_2_wgs_49_tpt_49_dp_ip_CI_sbrr_dirReg, .Lfunc_end0-fft_rtc_fwd_len686_factors_7_7_7_2_wgs_49_tpt_49_dp_ip_CI_sbrr_dirReg
                                        ; -- End function
	.section	.AMDGPU.csdata,"",@progbits
; Kernel info:
; codeLenInByte = 9688
; NumSgprs: 31
; NumVgprs: 112
; NumAgprs: 0
; TotalNumVgprs: 112
; ScratchSize: 0
; MemoryBound: 0
; FloatMode: 240
; IeeeMode: 1
; LDSByteSize: 0 bytes/workgroup (compile time only)
; SGPRBlocks: 3
; VGPRBlocks: 13
; NumSGPRsForWavesPerEU: 31
; NumVGPRsForWavesPerEU: 112
; AccumOffset: 112
; Occupancy: 4
; WaveLimiterHint : 1
; COMPUTE_PGM_RSRC2:SCRATCH_EN: 0
; COMPUTE_PGM_RSRC2:USER_SGPR: 2
; COMPUTE_PGM_RSRC2:TRAP_HANDLER: 0
; COMPUTE_PGM_RSRC2:TGID_X_EN: 1
; COMPUTE_PGM_RSRC2:TGID_Y_EN: 0
; COMPUTE_PGM_RSRC2:TGID_Z_EN: 0
; COMPUTE_PGM_RSRC2:TIDIG_COMP_CNT: 0
; COMPUTE_PGM_RSRC3_GFX90A:ACCUM_OFFSET: 27
; COMPUTE_PGM_RSRC3_GFX90A:TG_SPLIT: 0
	.text
	.p2alignl 6, 3212836864
	.fill 256, 4, 3212836864
	.type	__hip_cuid_ac3ac20e14f0160b,@object ; @__hip_cuid_ac3ac20e14f0160b
	.section	.bss,"aw",@nobits
	.globl	__hip_cuid_ac3ac20e14f0160b
__hip_cuid_ac3ac20e14f0160b:
	.byte	0                               ; 0x0
	.size	__hip_cuid_ac3ac20e14f0160b, 1

	.ident	"AMD clang version 19.0.0git (https://github.com/RadeonOpenCompute/llvm-project roc-6.4.0 25133 c7fe45cf4b819c5991fe208aaa96edf142730f1d)"
	.section	".note.GNU-stack","",@progbits
	.addrsig
	.addrsig_sym __hip_cuid_ac3ac20e14f0160b
	.amdgpu_metadata
---
amdhsa.kernels:
  - .agpr_count:     0
    .args:
      - .actual_access:  read_only
        .address_space:  global
        .offset:         0
        .size:           8
        .value_kind:     global_buffer
      - .offset:         8
        .size:           8
        .value_kind:     by_value
      - .actual_access:  read_only
        .address_space:  global
        .offset:         16
        .size:           8
        .value_kind:     global_buffer
      - .actual_access:  read_only
        .address_space:  global
        .offset:         24
        .size:           8
        .value_kind:     global_buffer
      - .offset:         32
        .size:           8
        .value_kind:     by_value
      - .actual_access:  read_only
        .address_space:  global
        .offset:         40
        .size:           8
        .value_kind:     global_buffer
      - .actual_access:  read_only
        .address_space:  global
        .offset:         48
        .size:           8
        .value_kind:     global_buffer
      - .offset:         56
        .size:           4
        .value_kind:     by_value
      - .actual_access:  read_only
        .address_space:  global
        .offset:         64
        .size:           8
        .value_kind:     global_buffer
      - .actual_access:  read_only
        .address_space:  global
        .offset:         72
        .size:           8
        .value_kind:     global_buffer
      - .address_space:  global
        .offset:         80
        .size:           8
        .value_kind:     global_buffer
    .group_segment_fixed_size: 0
    .kernarg_segment_align: 8
    .kernarg_segment_size: 88
    .language:       OpenCL C
    .language_version:
      - 2
      - 0
    .max_flat_workgroup_size: 49
    .name:           fft_rtc_fwd_len686_factors_7_7_7_2_wgs_49_tpt_49_dp_ip_CI_sbrr_dirReg
    .private_segment_fixed_size: 0
    .sgpr_count:     31
    .sgpr_spill_count: 0
    .symbol:         fft_rtc_fwd_len686_factors_7_7_7_2_wgs_49_tpt_49_dp_ip_CI_sbrr_dirReg.kd
    .uniform_work_group_size: 1
    .uses_dynamic_stack: false
    .vgpr_count:     112
    .vgpr_spill_count: 0
    .wavefront_size: 64
amdhsa.target:   amdgcn-amd-amdhsa--gfx950
amdhsa.version:
  - 1
  - 2
...

	.end_amdgpu_metadata
